;; amdgpu-corpus repo=ROCm/rocFFT kind=compiled arch=gfx1030 opt=O3
	.text
	.amdgcn_target "amdgcn-amd-amdhsa--gfx1030"
	.amdhsa_code_object_version 6
	.protected	fft_rtc_back_len833_factors_17_7_7_wgs_119_tpt_119_halfLds_dp_op_CI_CI_sbrr_dirReg ; -- Begin function fft_rtc_back_len833_factors_17_7_7_wgs_119_tpt_119_halfLds_dp_op_CI_CI_sbrr_dirReg
	.globl	fft_rtc_back_len833_factors_17_7_7_wgs_119_tpt_119_halfLds_dp_op_CI_CI_sbrr_dirReg
	.p2align	8
	.type	fft_rtc_back_len833_factors_17_7_7_wgs_119_tpt_119_halfLds_dp_op_CI_CI_sbrr_dirReg,@function
fft_rtc_back_len833_factors_17_7_7_wgs_119_tpt_119_halfLds_dp_op_CI_CI_sbrr_dirReg: ; @fft_rtc_back_len833_factors_17_7_7_wgs_119_tpt_119_halfLds_dp_op_CI_CI_sbrr_dirReg
; %bb.0:
	s_clause 0x2
	s_load_dwordx4 s[16:19], s[4:5], 0x18
	s_load_dwordx4 s[12:15], s[4:5], 0x0
	;; [unrolled: 1-line block ×3, first 2 shown]
	v_mul_u32_u24_e32 v2, 0x227, v0
	v_mov_b32_e32 v1, 0
	v_mov_b32_e32 v68, 0
	;; [unrolled: 1-line block ×3, first 2 shown]
	s_waitcnt lgkmcnt(0)
	s_load_dwordx2 s[20:21], s[16:17], 0x0
	s_load_dwordx2 s[2:3], s[18:19], 0x0
	v_cmp_lt_u64_e64 s0, s[14:15], 2
	v_add_nc_u32_sdwa v3, s6, v2 dst_sel:DWORD dst_unused:UNUSED_PAD src0_sel:DWORD src1_sel:WORD_1
	v_mov_b32_e32 v4, v1
	s_and_b32 vcc_lo, exec_lo, s0
	s_cbranch_vccnz .LBB0_8
; %bb.1:
	s_load_dwordx2 s[0:1], s[4:5], 0x10
	v_mov_b32_e32 v68, 0
	v_mov_b32_e32 v69, 0
	s_add_u32 s6, s18, 8
	s_addc_u32 s7, s19, 0
	s_add_u32 s22, s16, 8
	s_addc_u32 s23, s17, 0
	v_mov_b32_e32 v81, v69
	v_mov_b32_e32 v80, v68
	s_mov_b64 s[26:27], 1
	s_waitcnt lgkmcnt(0)
	s_add_u32 s24, s0, 8
	s_addc_u32 s25, s1, 0
.LBB0_2:                                ; =>This Inner Loop Header: Depth=1
	s_load_dwordx2 s[28:29], s[24:25], 0x0
                                        ; implicit-def: $vgpr82_vgpr83
	s_mov_b32 s0, exec_lo
	s_waitcnt lgkmcnt(0)
	v_or_b32_e32 v2, s29, v4
	v_cmpx_ne_u64_e32 0, v[1:2]
	s_xor_b32 s1, exec_lo, s0
	s_cbranch_execz .LBB0_4
; %bb.3:                                ;   in Loop: Header=BB0_2 Depth=1
	v_cvt_f32_u32_e32 v2, s28
	v_cvt_f32_u32_e32 v5, s29
	s_sub_u32 s0, 0, s28
	s_subb_u32 s30, 0, s29
	v_fmac_f32_e32 v2, 0x4f800000, v5
	v_rcp_f32_e32 v2, v2
	v_mul_f32_e32 v2, 0x5f7ffffc, v2
	v_mul_f32_e32 v5, 0x2f800000, v2
	v_trunc_f32_e32 v5, v5
	v_fmac_f32_e32 v2, 0xcf800000, v5
	v_cvt_u32_f32_e32 v5, v5
	v_cvt_u32_f32_e32 v2, v2
	v_mul_lo_u32 v6, s0, v5
	v_mul_hi_u32 v7, s0, v2
	v_mul_lo_u32 v8, s30, v2
	v_add_nc_u32_e32 v6, v7, v6
	v_mul_lo_u32 v7, s0, v2
	v_add_nc_u32_e32 v6, v6, v8
	v_mul_hi_u32 v8, v2, v7
	v_mul_lo_u32 v9, v2, v6
	v_mul_hi_u32 v10, v2, v6
	v_mul_hi_u32 v11, v5, v7
	v_mul_lo_u32 v7, v5, v7
	v_mul_hi_u32 v12, v5, v6
	v_mul_lo_u32 v6, v5, v6
	v_add_co_u32 v8, vcc_lo, v8, v9
	v_add_co_ci_u32_e32 v9, vcc_lo, 0, v10, vcc_lo
	v_add_co_u32 v7, vcc_lo, v8, v7
	v_add_co_ci_u32_e32 v7, vcc_lo, v9, v11, vcc_lo
	v_add_co_ci_u32_e32 v8, vcc_lo, 0, v12, vcc_lo
	v_add_co_u32 v6, vcc_lo, v7, v6
	v_add_co_ci_u32_e32 v7, vcc_lo, 0, v8, vcc_lo
	v_add_co_u32 v2, vcc_lo, v2, v6
	v_add_co_ci_u32_e32 v5, vcc_lo, v5, v7, vcc_lo
	v_mul_hi_u32 v6, s0, v2
	v_mul_lo_u32 v8, s30, v2
	v_mul_lo_u32 v7, s0, v5
	v_add_nc_u32_e32 v6, v6, v7
	v_mul_lo_u32 v7, s0, v2
	v_add_nc_u32_e32 v6, v6, v8
	v_mul_hi_u32 v8, v2, v7
	v_mul_lo_u32 v9, v2, v6
	v_mul_hi_u32 v10, v2, v6
	v_mul_hi_u32 v11, v5, v7
	v_mul_lo_u32 v7, v5, v7
	v_mul_hi_u32 v12, v5, v6
	v_mul_lo_u32 v6, v5, v6
	v_add_co_u32 v8, vcc_lo, v8, v9
	v_add_co_ci_u32_e32 v9, vcc_lo, 0, v10, vcc_lo
	v_add_co_u32 v7, vcc_lo, v8, v7
	v_add_co_ci_u32_e32 v7, vcc_lo, v9, v11, vcc_lo
	v_add_co_ci_u32_e32 v8, vcc_lo, 0, v12, vcc_lo
	v_add_co_u32 v6, vcc_lo, v7, v6
	v_add_co_ci_u32_e32 v7, vcc_lo, 0, v8, vcc_lo
	v_add_co_u32 v2, vcc_lo, v2, v6
	v_add_co_ci_u32_e32 v9, vcc_lo, v5, v7, vcc_lo
	v_mul_hi_u32 v11, v3, v2
	v_mad_u64_u32 v[7:8], null, v4, v2, 0
	v_mad_u64_u32 v[5:6], null, v3, v9, 0
	v_mad_u64_u32 v[9:10], null, v4, v9, 0
	v_add_co_u32 v2, vcc_lo, v11, v5
	v_add_co_ci_u32_e32 v5, vcc_lo, 0, v6, vcc_lo
	v_add_co_u32 v2, vcc_lo, v2, v7
	v_add_co_ci_u32_e32 v2, vcc_lo, v5, v8, vcc_lo
	v_add_co_ci_u32_e32 v5, vcc_lo, 0, v10, vcc_lo
	v_add_co_u32 v2, vcc_lo, v2, v9
	v_add_co_ci_u32_e32 v7, vcc_lo, 0, v5, vcc_lo
	v_mul_lo_u32 v8, s29, v2
	v_mad_u64_u32 v[5:6], null, s28, v2, 0
	v_mul_lo_u32 v9, s28, v7
	v_sub_co_u32 v5, vcc_lo, v3, v5
	v_add3_u32 v6, v6, v9, v8
	v_sub_nc_u32_e32 v8, v4, v6
	v_subrev_co_ci_u32_e64 v8, s0, s29, v8, vcc_lo
	v_add_co_u32 v9, s0, v2, 2
	v_add_co_ci_u32_e64 v10, s0, 0, v7, s0
	v_sub_co_u32 v11, s0, v5, s28
	v_sub_co_ci_u32_e32 v6, vcc_lo, v4, v6, vcc_lo
	v_subrev_co_ci_u32_e64 v8, s0, 0, v8, s0
	v_cmp_le_u32_e32 vcc_lo, s28, v11
	v_cmp_eq_u32_e64 s0, s29, v6
	v_cndmask_b32_e64 v11, 0, -1, vcc_lo
	v_cmp_le_u32_e32 vcc_lo, s29, v8
	v_cndmask_b32_e64 v12, 0, -1, vcc_lo
	v_cmp_le_u32_e32 vcc_lo, s28, v5
	;; [unrolled: 2-line block ×3, first 2 shown]
	v_cndmask_b32_e64 v13, 0, -1, vcc_lo
	v_cmp_eq_u32_e32 vcc_lo, s29, v8
	v_cndmask_b32_e64 v5, v13, v5, s0
	v_cndmask_b32_e32 v8, v12, v11, vcc_lo
	v_add_co_u32 v11, vcc_lo, v2, 1
	v_add_co_ci_u32_e32 v12, vcc_lo, 0, v7, vcc_lo
	v_cmp_ne_u32_e32 vcc_lo, 0, v8
	v_cndmask_b32_e32 v6, v12, v10, vcc_lo
	v_cndmask_b32_e32 v8, v11, v9, vcc_lo
	v_cmp_ne_u32_e32 vcc_lo, 0, v5
	v_cndmask_b32_e32 v83, v7, v6, vcc_lo
	v_cndmask_b32_e32 v82, v2, v8, vcc_lo
.LBB0_4:                                ;   in Loop: Header=BB0_2 Depth=1
	s_andn2_saveexec_b32 s0, s1
	s_cbranch_execz .LBB0_6
; %bb.5:                                ;   in Loop: Header=BB0_2 Depth=1
	v_cvt_f32_u32_e32 v2, s28
	s_sub_i32 s1, 0, s28
	v_mov_b32_e32 v83, v1
	v_rcp_iflag_f32_e32 v2, v2
	v_mul_f32_e32 v2, 0x4f7ffffe, v2
	v_cvt_u32_f32_e32 v2, v2
	v_mul_lo_u32 v5, s1, v2
	v_mul_hi_u32 v5, v2, v5
	v_add_nc_u32_e32 v2, v2, v5
	v_mul_hi_u32 v2, v3, v2
	v_mul_lo_u32 v5, v2, s28
	v_add_nc_u32_e32 v6, 1, v2
	v_sub_nc_u32_e32 v5, v3, v5
	v_subrev_nc_u32_e32 v7, s28, v5
	v_cmp_le_u32_e32 vcc_lo, s28, v5
	v_cndmask_b32_e32 v5, v5, v7, vcc_lo
	v_cndmask_b32_e32 v2, v2, v6, vcc_lo
	v_cmp_le_u32_e32 vcc_lo, s28, v5
	v_add_nc_u32_e32 v6, 1, v2
	v_cndmask_b32_e32 v82, v2, v6, vcc_lo
.LBB0_6:                                ;   in Loop: Header=BB0_2 Depth=1
	s_or_b32 exec_lo, exec_lo, s0
	v_mul_lo_u32 v2, v83, s28
	v_mul_lo_u32 v7, v82, s29
	s_load_dwordx2 s[0:1], s[22:23], 0x0
	v_mad_u64_u32 v[5:6], null, v82, s28, 0
	s_load_dwordx2 s[28:29], s[6:7], 0x0
	s_add_u32 s26, s26, 1
	s_addc_u32 s27, s27, 0
	s_add_u32 s6, s6, 8
	s_addc_u32 s7, s7, 0
	s_add_u32 s22, s22, 8
	v_add3_u32 v2, v6, v7, v2
	v_sub_co_u32 v3, vcc_lo, v3, v5
	s_addc_u32 s23, s23, 0
	s_add_u32 s24, s24, 8
	v_sub_co_ci_u32_e32 v2, vcc_lo, v4, v2, vcc_lo
	s_addc_u32 s25, s25, 0
	s_waitcnt lgkmcnt(0)
	v_mul_lo_u32 v4, s0, v2
	v_mul_lo_u32 v5, s1, v3
	v_mad_u64_u32 v[68:69], null, s0, v3, v[68:69]
	v_mul_lo_u32 v2, s28, v2
	v_mul_lo_u32 v6, s29, v3
	v_mad_u64_u32 v[80:81], null, s28, v3, v[80:81]
	v_cmp_ge_u64_e64 s0, s[26:27], s[14:15]
	v_add3_u32 v69, v5, v69, v4
	v_add3_u32 v81, v6, v81, v2
	s_and_b32 vcc_lo, exec_lo, s0
	s_cbranch_vccnz .LBB0_9
; %bb.7:                                ;   in Loop: Header=BB0_2 Depth=1
	v_mov_b32_e32 v3, v82
	v_mov_b32_e32 v4, v83
	s_branch .LBB0_2
.LBB0_8:
	v_mov_b32_e32 v81, v69
	v_mov_b32_e32 v83, v4
	;; [unrolled: 1-line block ×4, first 2 shown]
.LBB0_9:
	s_load_dwordx2 s[0:1], s[4:5], 0x28
	s_lshl_b64 s[6:7], s[14:15], 3
	v_mul_hi_u32 v1, 0x226b903, v0
	s_add_u32 s4, s18, s6
	s_addc_u32 s5, s19, s7
	v_mov_b32_e32 v105, 0
	s_load_dwordx2 s[4:5], s[4:5], 0x0
                                        ; implicit-def: $vgpr6_vgpr7
                                        ; implicit-def: $vgpr18_vgpr19
                                        ; implicit-def: $vgpr22_vgpr23
                                        ; implicit-def: $vgpr26_vgpr27
                                        ; implicit-def: $vgpr30_vgpr31
                                        ; implicit-def: $vgpr34_vgpr35
                                        ; implicit-def: $vgpr38_vgpr39
                                        ; implicit-def: $vgpr14_vgpr15
                                        ; implicit-def: $vgpr10_vgpr11
                                        ; implicit-def: $vgpr46_vgpr47
                                        ; implicit-def: $vgpr50_vgpr51
                                        ; implicit-def: $vgpr58_vgpr59
                                        ; implicit-def: $vgpr62_vgpr63
                                        ; implicit-def: $vgpr42_vgpr43
                                        ; implicit-def: $vgpr54_vgpr55
                                        ; implicit-def: $vgpr66_vgpr67
                                        ; implicit-def: $vgpr2_vgpr3
	v_mul_u32_u24_e32 v1, 0x77, v1
	v_sub_nc_u32_e32 v104, v0, v1
	s_waitcnt lgkmcnt(0)
	v_cmp_gt_u64_e32 vcc_lo, s[0:1], v[82:83]
	s_and_saveexec_b32 s14, vcc_lo
	s_cbranch_execz .LBB0_13
; %bb.10:
	s_mov_b32 s15, exec_lo
                                        ; implicit-def: $vgpr0_vgpr1
                                        ; implicit-def: $vgpr64_vgpr65
                                        ; implicit-def: $vgpr52_vgpr53
                                        ; implicit-def: $vgpr40_vgpr41
                                        ; implicit-def: $vgpr60_vgpr61
                                        ; implicit-def: $vgpr56_vgpr57
                                        ; implicit-def: $vgpr48_vgpr49
                                        ; implicit-def: $vgpr44_vgpr45
                                        ; implicit-def: $vgpr8_vgpr9
                                        ; implicit-def: $vgpr12_vgpr13
                                        ; implicit-def: $vgpr36_vgpr37
                                        ; implicit-def: $vgpr32_vgpr33
                                        ; implicit-def: $vgpr28_vgpr29
                                        ; implicit-def: $vgpr24_vgpr25
                                        ; implicit-def: $vgpr20_vgpr21
                                        ; implicit-def: $vgpr16_vgpr17
                                        ; implicit-def: $vgpr4_vgpr5
	v_cmpx_gt_u32_e32 49, v104
	s_cbranch_execz .LBB0_12
; %bb.11:
	s_add_u32 s0, s16, s6
	s_addc_u32 s1, s17, s7
	v_add_nc_u32_e32 v15, 49, v104
	s_load_dwordx2 s[0:1], s[0:1], 0x0
	v_mad_u64_u32 v[0:1], null, s20, v104, 0
	v_add_nc_u32_e32 v17, 0x62, v104
	v_add_nc_u32_e32 v18, 0x93, v104
	v_mad_u64_u32 v[4:5], null, s20, v15, 0
	v_lshlrev_b64 v[2:3], 4, v[68:69]
	v_mad_u64_u32 v[6:7], null, s20, v17, 0
	v_mad_u64_u32 v[8:9], null, s20, v18, 0
	v_add_nc_u32_e32 v19, 0xc4, v104
	v_mad_u64_u32 v[12:13], null, s21, v104, v[1:2]
	v_mov_b32_e32 v1, v5
	v_mov_b32_e32 v5, v7
	v_mad_u64_u32 v[13:14], null, s20, v19, 0
	v_mov_b32_e32 v7, v9
	s_waitcnt lgkmcnt(0)
	v_mul_lo_u32 v16, s1, v82
	v_mul_lo_u32 v20, s0, v83
	v_mad_u64_u32 v[10:11], null, s0, v82, 0
	v_add_nc_u32_e32 v27, 0x21b, v104
	v_add_nc_u32_e32 v33, 0x27d, v104
	v_add_nc_u32_e32 v34, 0x2ae, v104
	v_add_nc_u32_e32 v35, 0x2df, v104
	v_add3_u32 v11, v11, v20, v16
	v_mad_u64_u32 v[15:16], null, s21, v15, v[1:2]
	v_mov_b32_e32 v1, v12
	v_mad_u64_u32 v[16:17], null, s21, v17, v[5:6]
	v_lshlrev_b64 v[9:10], 4, v[10:11]
	v_mad_u64_u32 v[11:12], null, s21, v18, v[7:8]
	v_mov_b32_e32 v5, v15
	v_lshlrev_b64 v[0:1], 4, v[0:1]
	v_add_nc_u32_e32 v12, 0xf5, v104
	v_add_co_u32 v9, s0, s8, v9
	v_add_co_ci_u32_e64 v10, s0, s9, v10, s0
	v_mov_b32_e32 v7, v16
	v_add_co_u32 v31, s0, v9, v2
	v_add_co_ci_u32_e64 v32, s0, v10, v3, s0
	v_lshlrev_b64 v[2:3], 4, v[4:5]
	v_add_co_u32 v0, s0, v31, v0
	v_mov_b32_e32 v9, v11
	v_add_co_ci_u32_e64 v1, s0, v32, v1, s0
	v_add_co_u32 v4, s0, v31, v2
	v_mov_b32_e32 v2, v14
	v_lshlrev_b64 v[6:7], 4, v[6:7]
	v_mad_u64_u32 v[10:11], null, s20, v12, 0
	v_lshlrev_b64 v[8:9], 4, v[8:9]
	v_add_nc_u32_e32 v17, 0x126, v104
	v_add_co_ci_u32_e64 v5, s0, v32, v3, s0
	v_mad_u64_u32 v[2:3], null, s21, v19, v[2:3]
	v_add_co_u32 v6, s0, v31, v6
	v_add_co_ci_u32_e64 v7, s0, v32, v7, s0
	v_mov_b32_e32 v3, v11
	v_mad_u64_u32 v[15:16], null, s20, v17, 0
	v_add_nc_u32_e32 v18, 0x157, v104
	v_add_co_u32 v8, s0, v31, v8
	v_add_co_ci_u32_e64 v9, s0, v32, v9, s0
	v_mov_b32_e32 v14, v2
	v_mad_u64_u32 v[11:12], null, s21, v12, v[3:4]
	s_clause 0x3
	global_load_dwordx4 v[0:3], v[0:1], off
	global_load_dwordx4 v[64:67], v[4:5], off
	;; [unrolled: 1-line block ×4, first 2 shown]
	v_mad_u64_u32 v[7:8], null, s20, v18, 0
	v_mov_b32_e32 v6, v16
	v_lshlrev_b64 v[4:5], 4, v[13:14]
	v_add_nc_u32_e32 v20, 0x1b9, v104
	v_lshlrev_b64 v[9:10], 4, v[10:11]
	v_mad_u64_u32 v[12:13], null, s21, v17, v[6:7]
	v_add_nc_u32_e32 v17, 0x188, v104
	v_mov_b32_e32 v6, v8
	v_add_co_u32 v4, s0, v31, v4
	v_add_co_ci_u32_e64 v5, s0, v32, v5, s0
	v_mad_u64_u32 v[13:14], null, s20, v17, 0
	v_mov_b32_e32 v16, v12
	v_mad_u64_u32 v[11:12], null, s21, v18, v[6:7]
	v_add_co_u32 v9, s0, v31, v9
	v_add_co_ci_u32_e64 v10, s0, v32, v10, s0
	v_mov_b32_e32 v6, v14
	v_lshlrev_b64 v[14:15], 4, v[15:16]
	v_mov_b32_e32 v8, v11
	s_clause 0x1
	global_load_dwordx4 v[60:63], v[4:5], off
	global_load_dwordx4 v[56:59], v[9:10], off
	v_mad_u64_u32 v[11:12], null, s21, v17, v[6:7]
	v_mad_u64_u32 v[16:17], null, s20, v20, 0
	v_add_co_u32 v18, s0, v31, v14
	v_add_co_ci_u32_e64 v19, s0, v32, v15, s0
	v_add_nc_u32_e32 v15, 0x1ea, v104
	v_lshlrev_b64 v[6:7], 4, v[7:8]
	v_mov_b32_e32 v14, v11
	v_mov_b32_e32 v8, v17
	v_mad_u64_u32 v[11:12], null, s20, v15, 0
	v_add_co_u32 v6, s0, v31, v6
	v_mad_u64_u32 v[20:21], null, s21, v20, v[8:9]
	v_mad_u64_u32 v[21:22], null, s20, v27, 0
	v_mov_b32_e32 v8, v12
	v_lshlrev_b64 v[12:13], 4, v[13:14]
	v_add_co_ci_u32_e64 v7, s0, v32, v7, s0
	v_mov_b32_e32 v17, v20
	v_add_nc_u32_e32 v20, 0x24c, v104
	v_mad_u64_u32 v[14:15], null, s21, v15, v[8:9]
	v_mov_b32_e32 v8, v22
	v_add_co_u32 v25, s0, v31, v12
	v_mad_u64_u32 v[23:24], null, s20, v20, 0
	v_mad_u64_u32 v[27:28], null, s21, v27, v[8:9]
	v_mov_b32_e32 v12, v14
	v_lshlrev_b64 v[15:16], 4, v[16:17]
	v_add_co_ci_u32_e64 v26, s0, v32, v13, s0
	v_mov_b32_e32 v8, v24
	v_lshlrev_b64 v[11:12], 4, v[11:12]
	v_mov_b32_e32 v22, v27
	v_add_co_u32 v13, s0, v31, v15
	v_add_co_ci_u32_e64 v14, s0, v32, v16, s0
	v_mad_u64_u32 v[15:16], null, s21, v20, v[8:9]
	v_add_co_u32 v16, s0, v31, v11
	v_add_co_ci_u32_e64 v17, s0, v32, v12, s0
	v_lshlrev_b64 v[11:12], 4, v[21:22]
	v_mad_u64_u32 v[20:21], null, s20, v33, 0
	v_mad_u64_u32 v[27:28], null, s20, v34, 0
	v_mov_b32_e32 v24, v15
	v_add_co_u32 v29, s0, v31, v11
	v_add_co_ci_u32_e64 v30, s0, v32, v12, s0
	v_mov_b32_e32 v8, v21
	v_mov_b32_e32 v15, v28
	v_lshlrev_b64 v[11:12], 4, v[23:24]
	s_clause 0x1
	global_load_dwordx4 v[48:51], v[18:19], off
	global_load_dwordx4 v[44:47], v[6:7], off
	v_mad_u64_u32 v[21:22], null, s21, v33, v[8:9]
	v_mad_u64_u32 v[22:23], null, s21, v34, v[15:16]
	;; [unrolled: 1-line block ×3, first 2 shown]
	v_add_nc_u32_e32 v15, 0x310, v104
	v_add_co_u32 v68, s0, v31, v11
	v_add_co_ci_u32_e64 v69, s0, v32, v12, s0
	v_mad_u64_u32 v[11:12], null, s20, v15, 0
	v_mov_b32_e32 v8, v24
	v_lshlrev_b64 v[6:7], 4, v[20:21]
	v_mov_b32_e32 v28, v22
	v_mad_u64_u32 v[4:5], null, s21, v35, v[8:9]
	v_mov_b32_e32 v5, v12
	v_mad_u64_u32 v[8:9], null, s21, v15, v[5:6]
	v_mov_b32_e32 v24, v4
	v_lshlrev_b64 v[9:10], 4, v[27:28]
	v_add_co_u32 v4, s0, v31, v6
	v_add_co_ci_u32_e64 v5, s0, v32, v7, s0
	v_mov_b32_e32 v12, v8
	v_lshlrev_b64 v[6:7], 4, v[23:24]
	v_add_co_u32 v18, s0, v31, v9
	v_add_co_ci_u32_e64 v19, s0, v32, v10, s0
	v_lshlrev_b64 v[20:21], 4, v[11:12]
	v_add_co_u32 v6, s0, v31, v6
	v_add_co_ci_u32_e64 v7, s0, v32, v7, s0
	s_clause 0x1
	global_load_dwordx4 v[8:11], v[25:26], off
	global_load_dwordx4 v[12:15], v[13:14], off
	v_add_co_u32 v70, s0, v31, v20
	v_add_co_ci_u32_e64 v71, s0, v32, v21, s0
	s_clause 0x6
	global_load_dwordx4 v[36:39], v[16:17], off
	global_load_dwordx4 v[32:35], v[29:30], off
	;; [unrolled: 1-line block ×7, first 2 shown]
.LBB0_12:
	s_or_b32 exec_lo, exec_lo, s15
	v_mov_b32_e32 v105, v104
.LBB0_13:
	s_or_b32 exec_lo, exec_lo, s14
	v_cmp_gt_u32_e64 s0, 49, v104
	s_and_saveexec_b32 s1, s0
	s_cbranch_execz .LBB0_15
; %bb.14:
	s_waitcnt vmcnt(0)
	v_add_f64 v[70:71], v[4:5], v[64:65]
	s_mov_b32 s6, 0x2b2883cd
	s_mov_b32 s22, 0x3259b75e
	;; [unrolled: 1-line block ×10, first 2 shown]
	v_add_f64 v[68:69], v[66:67], -v[6:7]
	v_add_f64 v[76:77], v[16:17], v[52:53]
	v_add_f64 v[132:133], v[64:65], v[0:1]
	s_mov_b32 s14, 0x7c9e640b
	s_mov_b32 s24, 0x6ed5f1bb
	;; [unrolled: 1-line block ×8, first 2 shown]
	v_mul_f64 v[74:75], v[70:71], s[6:7]
	v_mul_f64 v[78:79], v[70:71], s[30:31]
	;; [unrolled: 1-line block ×5, first 2 shown]
	s_mov_b32 s25, 0xbfe348c8
	s_mov_b32 s21, 0xbfefdd0d
	;; [unrolled: 1-line block ×10, first 2 shown]
	v_add_f64 v[72:73], v[54:55], -v[18:19]
	v_add_f64 v[90:91], v[20:21], v[40:41]
	v_mul_f64 v[102:103], v[76:77], s[24:25]
	v_mul_f64 v[100:101], v[76:77], s[22:23]
	;; [unrolled: 1-line block ×5, first 2 shown]
	v_fma_f64 v[108:109], v[68:69], s[14:15], v[74:75]
	v_fma_f64 v[110:111], v[68:69], s[18:19], v[78:79]
	;; [unrolled: 1-line block ×4, first 2 shown]
	v_mul_f64 v[122:123], v[76:77], s[6:7]
	v_fma_f64 v[126:127], v[68:69], s[48:49], v[106:107]
	v_add_f64 v[132:133], v[52:53], v[132:133]
	s_mov_b32 s8, 0x6c9a05f6
	s_mov_b32 s26, 0xacd6c6b4
	;; [unrolled: 1-line block ×10, first 2 shown]
	v_add_f64 v[86:87], v[42:43], -v[22:23]
	v_add_f64 v[88:89], v[24:25], v[60:61]
	v_mul_f64 v[96:97], v[90:91], s[28:29]
	v_mul_f64 v[98:99], v[90:91], s[24:25]
	;; [unrolled: 1-line block ×3, first 2 shown]
	v_fma_f64 v[128:129], v[72:73], s[16:17], v[102:103]
	v_fma_f64 v[130:131], v[72:73], s[20:21], v[100:101]
	v_add_f64 v[108:109], v[0:1], v[108:109]
	v_fma_f64 v[134:135], v[68:69], s[16:17], v[112:113]
	v_add_f64 v[110:111], v[0:1], v[110:111]
	v_mul_f64 v[136:137], v[90:91], s[30:31]
	v_mul_f64 v[138:139], v[90:91], s[34:35]
	v_fma_f64 v[140:141], v[72:73], s[44:45], v[114:115]
	v_fma_f64 v[142:143], v[72:73], s[36:37], v[116:117]
	v_add_f64 v[118:119], v[0:1], v[118:119]
	v_add_f64 v[120:121], v[0:1], v[120:121]
	v_mul_f64 v[150:151], v[90:91], s[22:23]
	v_fma_f64 v[152:153], v[72:73], s[50:51], v[122:123]
	v_add_f64 v[126:127], v[0:1], v[126:127]
	v_add_f64 v[132:133], v[40:41], v[132:133]
	s_mov_b32 s58, 0x370991
	s_mov_b32 s43, 0x3fe58eea
	;; [unrolled: 1-line block ×4, first 2 shown]
	v_add_f64 v[84:85], v[62:63], -v[26:27]
	v_add_f64 v[144:145], v[28:29], v[56:57]
	v_mul_f64 v[146:147], v[88:89], s[34:35]
	v_mul_f64 v[148:149], v[88:89], s[28:29]
	v_fma_f64 v[154:155], v[86:87], s[26:27], v[96:97]
	v_fma_f64 v[156:157], v[86:87], s[16:17], v[98:99]
	;; [unrolled: 1-line block ×3, first 2 shown]
	v_add_f64 v[134:135], v[0:1], v[134:135]
	v_add_f64 v[108:109], v[128:129], v[108:109]
	v_mul_f64 v[128:129], v[90:91], s[58:59]
	v_add_f64 v[110:111], v[130:131], v[110:111]
	v_fma_f64 v[130:131], v[86:87], s[42:43], v[136:137]
	v_fma_f64 v[160:161], v[86:87], s[38:39], v[138:139]
	v_add_f64 v[118:119], v[140:141], v[118:119]
	v_add_f64 v[120:121], v[142:143], v[120:121]
	v_mul_f64 v[140:141], v[88:89], s[6:7]
	v_mul_f64 v[162:163], v[88:89], s[58:59]
	;; [unrolled: 1-line block ×3, first 2 shown]
	v_fma_f64 v[168:169], v[86:87], s[20:21], v[150:151]
	v_add_f64 v[126:127], v[152:153], v[126:127]
	v_add_f64 v[132:133], v[60:61], v[132:133]
	s_mov_b32 s52, 0x5d8e7cdc
	s_mov_b32 s53, 0xbfd71e95
	;; [unrolled: 1-line block ×4, first 2 shown]
	v_add_f64 v[142:143], v[58:59], -v[30:31]
	v_mul_f64 v[164:165], v[144:145], s[30:31]
	v_mul_f64 v[152:153], v[144:145], s[40:41]
	v_fma_f64 v[170:171], v[84:85], s[38:39], v[146:147]
	v_fma_f64 v[172:173], v[84:85], s[36:37], v[148:149]
	v_add_f64 v[134:135], v[158:159], v[134:135]
	v_mul_f64 v[158:159], v[88:89], s[40:41]
	v_fma_f64 v[174:175], v[86:87], s[52:53], v[128:129]
	v_add_f64 v[108:109], v[154:155], v[108:109]
	v_add_f64 v[110:111], v[156:157], v[110:111]
	v_mul_f64 v[154:155], v[70:71], s[28:29]
	v_add_f64 v[118:119], v[130:131], v[118:119]
	v_add_f64 v[120:121], v[160:161], v[120:121]
	;; [unrolled: 1-line block ×3, first 2 shown]
	v_mul_f64 v[156:157], v[144:145], s[28:29]
	v_fma_f64 v[160:161], v[84:85], s[14:15], v[140:141]
	v_fma_f64 v[176:177], v[84:85], s[54:55], v[162:163]
	v_mul_f64 v[178:179], v[144:145], s[6:7]
	v_fma_f64 v[180:181], v[84:85], s[8:9], v[166:167]
	v_add_f64 v[126:127], v[168:169], v[126:127]
	v_mul_f64 v[168:169], v[144:145], s[58:59]
	v_add_f64 v[132:133], v[56:57], v[132:133]
	v_mul_f64 v[182:183], v[144:145], s[22:23]
	s_mov_b32 s57, 0x3fefdd0d
	v_fma_f64 v[186:187], v[142:143], s[44:45], v[152:153]
	s_mov_b32 s56, s20
	v_mul_f64 v[204:205], v[90:91], s[40:41]
	v_add_f64 v[206:207], v[46:47], -v[38:39]
	v_fma_f64 v[184:185], v[84:85], s[48:49], v[158:159]
	v_add_f64 v[134:135], v[174:175], v[134:135]
	v_fma_f64 v[174:175], v[142:143], s[42:43], v[164:165]
	v_add_f64 v[108:109], v[170:171], v[108:109]
	v_mul_f64 v[170:171], v[76:77], s[58:59]
	v_fma_f64 v[188:189], v[68:69], s[26:27], v[154:155]
	v_add_f64 v[110:111], v[172:173], v[110:111]
	v_add_f64 v[172:173], v[50:51], -v[34:35]
	v_mul_f64 v[190:191], v[130:131], s[58:59]
	v_fma_f64 v[192:193], v[142:143], s[36:37], v[156:157]
	v_add_f64 v[118:119], v[160:161], v[118:119]
	v_add_f64 v[120:121], v[176:177], v[120:121]
	;; [unrolled: 1-line block ×3, first 2 shown]
	v_fma_f64 v[194:195], v[142:143], s[14:15], v[178:179]
	v_add_f64 v[126:127], v[180:181], v[126:127]
	v_mul_f64 v[180:181], v[130:131], s[22:23]
	v_fma_f64 v[196:197], v[142:143], s[52:53], v[168:169]
	v_mul_f64 v[198:199], v[130:131], s[40:41]
	v_mul_f64 v[200:201], v[130:131], s[28:29]
	v_add_f64 v[132:133], v[48:49], v[132:133]
	v_mul_f64 v[202:203], v[130:131], s[30:31]
	v_fma_f64 v[154:155], v[68:69], s[36:37], v[154:155]
	v_mul_f64 v[70:71], v[70:71], s[58:59]
	v_add_f64 v[134:135], v[184:185], v[134:135]
	v_fma_f64 v[106:107], v[68:69], s[44:45], v[106:107]
	v_add_f64 v[108:109], v[174:175], v[108:109]
	v_fma_f64 v[174:175], v[142:143], s[56:57], v[182:183]
	v_fma_f64 v[184:185], v[72:73], s[52:53], v[170:171]
	v_add_f64 v[188:189], v[0:1], v[188:189]
	v_add_f64 v[110:111], v[186:187], v[110:111]
	v_fma_f64 v[186:187], v[172:173], s[52:53], v[190:191]
	v_fma_f64 v[170:171], v[72:73], s[54:55], v[170:171]
	v_add_f64 v[118:119], v[192:193], v[118:119]
	v_fma_f64 v[112:113], v[68:69], s[8:9], v[112:113]
	v_mul_f64 v[208:209], v[160:161], s[22:23]
	v_add_f64 v[120:121], v[194:195], v[120:121]
	v_mul_f64 v[214:215], v[160:161], s[58:59]
	v_fma_f64 v[192:193], v[172:173], s[56:57], v[180:181]
	v_add_f64 v[126:127], v[196:197], v[126:127]
	v_fma_f64 v[194:195], v[172:173], s[48:49], v[198:199]
	v_fma_f64 v[196:197], v[172:173], s[36:37], v[200:201]
	v_add_f64 v[132:133], v[44:45], v[132:133]
	v_mul_f64 v[76:77], v[76:77], s[30:31]
	v_add_f64 v[154:155], v[0:1], v[154:155]
	v_fma_f64 v[122:123], v[72:73], s[14:15], v[122:123]
	v_fma_f64 v[92:93], v[68:69], s[38:39], v[92:93]
	v_add_f64 v[106:107], v[0:1], v[106:107]
	v_fma_f64 v[94:95], v[68:69], s[56:57], v[94:95]
	v_add_f64 v[134:135], v[174:175], v[134:135]
	;; [unrolled: 2-line block ×4, first 2 shown]
	v_fma_f64 v[186:187], v[86:87], s[44:45], v[204:205]
	v_fma_f64 v[74:75], v[68:69], s[50:51], v[74:75]
	v_mul_f64 v[218:219], v[160:161], s[30:31]
	v_fma_f64 v[188:189], v[206:207], s[20:21], v[208:209]
	v_fma_f64 v[124:125], v[72:73], s[46:47], v[124:125]
	v_add_f64 v[112:113], v[0:1], v[112:113]
	v_add_f64 v[118:119], v[192:193], v[118:119]
	v_mul_f64 v[192:193], v[88:89], s[30:31]
	v_add_f64 v[120:121], v[194:195], v[120:121]
	v_add_f64 v[126:127], v[196:197], v[126:127]
	v_fma_f64 v[194:195], v[206:207], s[52:53], v[214:215]
	v_fma_f64 v[196:197], v[68:69], s[52:53], v[70:71]
	v_add_f64 v[132:133], v[8:9], v[132:133]
	v_fma_f64 v[68:69], v[68:69], s[54:55], v[70:71]
	v_add_f64 v[154:155], v[170:171], v[154:155]
	v_mul_f64 v[90:91], v[90:91], s[6:7]
	v_add_f64 v[106:107], v[122:123], v[106:107]
	v_add_f64 v[70:71], v[0:1], v[92:93]
	v_fma_f64 v[92:93], v[86:87], s[56:57], v[150:151]
	v_fma_f64 v[116:117], v[72:73], s[26:27], v[116:117]
	v_add_f64 v[134:135], v[184:185], v[134:135]
	v_add_f64 v[94:95], v[0:1], v[94:95]
	v_add_f64 v[170:171], v[186:187], v[174:175]
	v_fma_f64 v[174:175], v[86:87], s[48:49], v[204:205]
	v_fma_f64 v[100:101], v[72:73], s[56:57], v[100:101]
	v_add_f64 v[108:109], v[188:189], v[108:109]
	v_add_f64 v[78:79], v[0:1], v[78:79]
	v_fma_f64 v[114:115], v[72:73], s[48:49], v[114:115]
	v_fma_f64 v[102:103], v[72:73], s[8:9], v[102:103]
	;; [unrolled: 1-line block ×3, first 2 shown]
	v_add_f64 v[74:75], v[0:1], v[74:75]
	v_fma_f64 v[204:205], v[206:207], s[42:43], v[218:219]
	v_add_f64 v[118:119], v[194:195], v[118:119]
	v_add_f64 v[188:189], v[0:1], v[196:197]
	v_fma_f64 v[194:195], v[72:73], s[18:19], v[76:77]
	v_add_f64 v[122:123], v[12:13], v[132:133]
	v_fma_f64 v[72:73], v[72:73], s[42:43], v[76:77]
	v_add_f64 v[0:1], v[0:1], v[68:69]
	v_add_f64 v[112:113], v[124:125], v[112:113]
	v_fma_f64 v[124:125], v[86:87], s[54:55], v[128:129]
	v_fma_f64 v[128:129], v[84:85], s[42:43], v[192:193]
	v_mul_f64 v[88:89], v[88:89], s[22:23]
	v_add_f64 v[92:93], v[92:93], v[106:107]
	v_add_f64 v[94:95], v[116:117], v[94:95]
	v_fma_f64 v[106:107], v[86:87], s[46:47], v[138:139]
	v_add_f64 v[132:133], v[174:175], v[154:155]
	v_fma_f64 v[174:175], v[86:87], s[14:15], v[90:91]
	v_mul_f64 v[186:187], v[144:145], s[24:25]
	v_add_f64 v[78:79], v[100:101], v[78:79]
	v_add_f64 v[68:69], v[114:115], v[70:71]
	v_fma_f64 v[70:71], v[86:87], s[18:19], v[136:137]
	v_add_f64 v[150:151], v[184:185], v[170:171]
	v_fma_f64 v[114:115], v[84:85], s[16:17], v[166:167]
	;; [unrolled: 2-line block ×3, first 2 shown]
	v_fma_f64 v[98:99], v[86:87], s[8:9], v[98:99]
	v_add_f64 v[170:171], v[194:195], v[188:189]
	v_add_f64 v[100:101], v[36:37], v[122:123]
	v_fma_f64 v[86:87], v[86:87], s[50:51], v[90:91]
	v_add_f64 v[0:1], v[72:73], v[0:1]
	v_add_f64 v[102:103], v[204:205], v[126:127]
	;; [unrolled: 1-line block ×3, first 2 shown]
	v_fma_f64 v[122:123], v[84:85], s[44:45], v[158:159]
	v_mul_f64 v[138:139], v[144:145], s[34:35]
	v_mul_f64 v[176:177], v[130:131], s[34:35]
	v_fma_f64 v[144:145], v[142:143], s[54:55], v[168:169]
	v_add_f64 v[94:95], v[106:107], v[94:95]
	v_add_f64 v[124:125], v[128:129], v[132:133]
	v_fma_f64 v[128:129], v[84:85], s[20:21], v[88:89]
	v_fma_f64 v[106:107], v[84:85], s[52:53], v[162:163]
	;; [unrolled: 1-line block ×4, first 2 shown]
	v_add_f64 v[68:69], v[70:71], v[68:69]
	v_fma_f64 v[70:71], v[84:85], s[50:51], v[140:141]
	v_add_f64 v[92:93], v[114:115], v[92:93]
	v_fma_f64 v[114:115], v[84:85], s[26:27], v[148:149]
	v_add_f64 v[74:75], v[96:97], v[74:75]
	v_add_f64 v[78:79], v[98:99], v[78:79]
	v_add_f64 v[126:127], v[174:175], v[170:171]
	v_add_f64 v[100:101], v[32:33], v[100:101]
	v_fma_f64 v[96:97], v[84:85], s[46:47], v[146:147]
	v_fma_f64 v[84:85], v[84:85], s[56:57], v[88:89]
	v_add_f64 v[0:1], v[86:87], v[0:1]
	v_fma_f64 v[140:141], v[142:143], s[16:17], v[186:187]
	v_add_f64 v[112:113], v[122:123], v[112:113]
	v_fma_f64 v[146:147], v[142:143], s[20:21], v[182:183]
	v_fma_f64 v[148:149], v[142:143], s[26:27], v[156:157]
	;; [unrolled: 1-line block ×3, first 2 shown]
	v_mul_f64 v[212:213], v[160:161], s[6:7]
	v_add_f64 v[76:77], v[12:13], v[8:9]
	v_mul_f64 v[216:217], v[160:161], s[24:25]
	v_add_f64 v[94:95], v[106:107], v[94:95]
	v_fma_f64 v[106:107], v[142:143], s[46:47], v[138:139]
	v_add_f64 v[116:117], v[154:155], v[150:151]
	v_fma_f64 v[150:151], v[142:143], s[50:51], v[178:179]
	;; [unrolled: 2-line block ×3, first 2 shown]
	v_mul_f64 v[122:123], v[160:161], s[28:29]
	v_add_f64 v[92:93], v[144:145], v[92:93]
	v_add_f64 v[78:79], v[114:115], v[78:79]
	;; [unrolled: 1-line block ×3, first 2 shown]
	v_mul_f64 v[128:129], v[130:131], s[6:7]
	v_mul_f64 v[130:131], v[130:131], s[24:25]
	v_add_f64 v[100:101], v[28:29], v[100:101]
	v_add_f64 v[74:75], v[96:97], v[74:75]
	v_fma_f64 v[114:115], v[142:143], s[18:19], v[164:165]
	v_add_f64 v[0:1], v[84:85], v[0:1]
	v_add_f64 v[124:125], v[140:141], v[124:125]
	v_mul_f64 v[142:143], v[160:161], s[34:35]
	v_fma_f64 v[144:145], v[172:173], s[26:27], v[200:201]
	v_add_f64 v[112:113], v[146:147], v[112:113]
	v_fma_f64 v[146:147], v[172:173], s[42:43], v[202:203]
	v_mul_f64 v[156:157], v[160:161], s[40:41]
	v_add_f64 v[110:111], v[210:211], v[110:111]
	v_fma_f64 v[210:211], v[206:207], s[50:51], v[212:213]
	v_add_f64 v[132:133], v[10:11], -v[14:15]
	v_add_f64 v[94:95], v[150:151], v[94:95]
	v_add_f64 v[68:69], v[148:149], v[68:69]
	v_fma_f64 v[148:149], v[172:173], s[20:21], v[180:181]
	v_fma_f64 v[150:151], v[172:173], s[44:45], v[198:199]
	v_mul_f64 v[90:91], v[76:77], s[40:41]
	v_add_f64 v[78:79], v[152:153], v[78:79]
	v_add_f64 v[106:107], v[106:107], v[126:127]
	v_fma_f64 v[140:141], v[172:173], s[14:15], v[128:129]
	v_fma_f64 v[128:129], v[172:173], s[50:51], v[128:129]
	;; [unrolled: 1-line block ×3, first 2 shown]
	v_add_f64 v[100:101], v[24:25], v[100:101]
	v_add_f64 v[74:75], v[114:115], v[74:75]
	v_fma_f64 v[114:115], v[172:173], s[54:55], v[190:191]
	v_fma_f64 v[152:153], v[172:173], s[46:47], v[176:177]
	;; [unrolled: 1-line block ×3, first 2 shown]
	v_add_f64 v[0:1], v[138:139], v[0:1]
	v_mul_f64 v[72:73], v[76:77], s[58:59]
	v_fma_f64 v[196:197], v[206:207], s[8:9], v[216:217]
	v_mul_f64 v[136:137], v[76:77], s[24:25]
	v_mul_f64 v[98:99], v[76:77], s[30:31]
	v_fma_f64 v[154:155], v[206:207], s[36:37], v[122:123]
	v_mul_f64 v[84:85], v[76:77], s[34:35]
	v_mul_f64 v[158:159], v[76:77], s[6:7]
	;; [unrolled: 1-line block ×3, first 2 shown]
	v_add_f64 v[92:93], v[144:145], v[92:93]
	v_fma_f64 v[138:139], v[206:207], s[18:19], v[218:219]
	v_add_f64 v[112:113], v[146:147], v[112:113]
	v_fma_f64 v[122:123], v[206:207], s[26:27], v[122:123]
	v_mul_f64 v[76:77], v[76:77], s[28:29]
	v_add_f64 v[116:117], v[140:141], v[116:117]
	v_fma_f64 v[140:141], v[206:207], s[38:39], v[142:143]
	v_add_f64 v[124:125], v[128:129], v[124:125]
	v_fma_f64 v[128:129], v[206:207], s[46:47], v[142:143]
	;; [unrolled: 2-line block ×3, first 2 shown]
	v_add_f64 v[100:101], v[20:21], v[100:101]
	v_add_f64 v[68:69], v[148:149], v[68:69]
	v_fma_f64 v[142:143], v[206:207], s[54:55], v[214:215]
	v_add_f64 v[94:95], v[150:151], v[94:95]
	v_fma_f64 v[144:145], v[206:207], s[16:17], v[216:217]
	v_add_f64 v[74:75], v[114:115], v[74:75]
	v_add_f64 v[78:79], v[152:153], v[78:79]
	v_fma_f64 v[114:115], v[206:207], s[56:57], v[208:209]
	v_fma_f64 v[146:147], v[206:207], s[14:15], v[212:213]
	v_fma_f64 v[150:151], v[206:207], s[44:45], v[156:157]
	v_add_f64 v[0:1], v[130:131], v[0:1]
	v_add_f64 v[110:111], v[210:211], v[110:111]
	v_fma_f64 v[88:89], v[132:133], s[48:49], v[90:91]
	v_fma_f64 v[86:87], v[132:133], s[54:55], v[72:73]
	v_add_f64 v[120:121], v[196:197], v[120:121]
	v_fma_f64 v[70:71], v[132:133], s[16:17], v[136:137]
	v_fma_f64 v[96:97], v[132:133], s[42:43], v[98:99]
	;; [unrolled: 3-line block ×3, first 2 shown]
	v_add_f64 v[116:117], v[140:141], v[116:117]
	v_fma_f64 v[140:141], v[132:133], s[20:21], v[160:161]
	v_add_f64 v[124:125], v[128:129], v[124:125]
	v_fma_f64 v[128:129], v[132:133], s[56:57], v[160:161]
	v_add_f64 v[92:93], v[138:139], v[92:93]
	v_fma_f64 v[84:85], v[132:133], s[38:39], v[84:85]
	v_add_f64 v[112:113], v[122:123], v[112:113]
	v_fma_f64 v[122:123], v[132:133], s[14:15], v[158:159]
	v_add_f64 v[106:107], v[126:127], v[106:107]
	v_fma_f64 v[126:127], v[132:133], s[36:37], v[76:77]
	v_add_f64 v[100:101], v[16:17], v[100:101]
	v_add_f64 v[68:69], v[142:143], v[68:69]
	v_fma_f64 v[136:137], v[132:133], s[8:9], v[136:137]
	v_add_f64 v[94:95], v[144:145], v[94:95]
	v_fma_f64 v[98:99], v[132:133], s[18:19], v[98:99]
	v_add_f64 v[74:75], v[114:115], v[74:75]
	v_add_f64 v[78:79], v[146:147], v[78:79]
	v_fma_f64 v[90:91], v[132:133], s[44:45], v[90:91]
	v_fma_f64 v[72:73], v[132:133], s[52:53], v[72:73]
	;; [unrolled: 1-line block ×3, first 2 shown]
	v_add_f64 v[0:1], v[150:151], v[0:1]
	v_add_f64 v[88:89], v[88:89], v[108:109]
	;; [unrolled: 1-line block ×18, first 2 shown]
	v_mad_u32_u24 v76, 0x88, v104, 0
	ds_write2_b64 v76, v[86:87], v[88:89] offset0:2 offset1:3
	ds_write2_b64 v76, v[96:97], v[70:71] offset0:4 offset1:5
	;; [unrolled: 1-line block ×5, first 2 shown]
	ds_write2_b64 v76, v[100:101], v[106:107] offset1:1
	ds_write2_b64 v76, v[68:69], v[94:95] offset0:12 offset1:13
	ds_write2_b64 v76, v[74:75], v[72:73] offset0:14 offset1:15
	ds_write_b64 v76, v[0:1] offset:128
.LBB0_15:
	s_or_b32 exec_lo, exec_lo, s1
	v_lshl_add_u32 v84, v104, 3, 0
	s_waitcnt vmcnt(0) lgkmcnt(0)
	s_barrier
	buffer_gl0_inv
	v_add_nc_u32_e32 v85, 0x400, v84
	v_add_nc_u32_e32 v86, 0xc00, v84
	ds_read2_b64 v[68:71], v84 offset1:119
	ds_read2_b64 v[76:79], v85 offset0:110 offset1:229
	ds_read2_b64 v[72:75], v86 offset0:92 offset1:211
	ds_read_b64 v[0:1], v84 offset:5712
	s_waitcnt lgkmcnt(0)
	s_barrier
	buffer_gl0_inv
	s_and_saveexec_b32 s33, s0
	s_cbranch_execz .LBB0_17
; %bb.16:
	v_add_f64 v[87:88], v[66:67], v[2:3]
	v_add_f64 v[4:5], v[64:65], -v[4:5]
	v_add_f64 v[20:21], v[40:41], -v[20:21]
	s_mov_b32 s28, 0x5d8e7cdc
	s_mov_b32 s46, 0x2a9d6da3
	;; [unrolled: 1-line block ×15, first 2 shown]
	v_add_f64 v[66:67], v[6:7], v[66:67]
	s_mov_b32 s37, 0xbfc7851a
	v_add_f64 v[16:17], v[52:53], -v[16:17]
	v_add_f64 v[52:53], v[22:23], v[42:43]
	v_add_f64 v[64:65], v[54:55], v[87:88]
	v_add_f64 v[36:37], v[44:45], -v[36:37]
	v_mul_f64 v[44:45], v[4:5], s[28:29]
	v_mul_f64 v[87:88], v[4:5], s[34:35]
	;; [unrolled: 1-line block ×5, first 2 shown]
	s_mov_b32 s0, 0x370991
	s_mov_b32 s6, 0x75d4884
	;; [unrolled: 1-line block ×15, first 2 shown]
	v_add_f64 v[40:41], v[42:43], v[64:65]
	v_add_f64 v[42:43], v[26:27], v[62:63]
	v_mul_f64 v[64:65], v[4:5], s[48:49]
	s_mov_b32 s21, 0xbfeb34fa
	s_mov_b32 s24, 0x7faef3
	;; [unrolled: 1-line block ×7, first 2 shown]
	v_add_f64 v[54:55], v[18:19], v[54:55]
	s_mov_b32 s41, 0x3fd71e95
	v_add_f64 v[24:25], v[60:61], -v[24:25]
	v_add_f64 v[28:29], v[56:57], -v[28:29]
	s_mov_b32 s40, s28
	v_mul_f64 v[95:96], v[16:17], s[46:47]
	v_mul_f64 v[97:98], v[16:17], s[34:35]
	;; [unrolled: 1-line block ×5, first 2 shown]
	v_fma_f64 v[168:169], v[66:67], s[0:1], -v[44:45]
	v_fma_f64 v[44:45], v[66:67], s[0:1], v[44:45]
	v_add_f64 v[40:41], v[62:63], v[40:41]
	v_mul_f64 v[62:63], v[4:5], s[46:47]
	v_mul_f64 v[4:5], v[4:5], s[36:37]
	v_fma_f64 v[172:173], v[66:67], s[8:9], -v[64:65]
	v_fma_f64 v[64:65], v[66:67], s[8:9], v[64:65]
	v_fma_f64 v[174:175], v[66:67], s[14:15], -v[87:88]
	v_fma_f64 v[87:88], v[66:67], s[14:15], v[87:88]
	v_fma_f64 v[176:177], v[66:67], s[16:17], -v[89:90]
	v_mul_f64 v[108:109], v[16:17], s[54:55]
	v_mul_f64 v[110:111], v[16:17], s[38:39]
	v_fma_f64 v[178:179], v[66:67], s[18:19], -v[91:92]
	v_fma_f64 v[91:92], v[66:67], s[18:19], v[91:92]
	v_fma_f64 v[180:181], v[66:67], s[20:21], -v[93:94]
	v_add_f64 v[32:33], v[48:49], -v[32:33]
	v_add_f64 v[48:49], v[38:39], v[46:47]
	v_mul_f64 v[16:17], v[16:17], s[40:41]
	v_fma_f64 v[93:94], v[66:67], s[20:21], v[93:94]
	v_fma_f64 v[89:90], v[66:67], s[16:17], v[89:90]
	s_mov_b32 s57, 0x3fc7851a
	s_mov_b32 s43, 0x3fe58eea
	;; [unrolled: 1-line block ×4, first 2 shown]
	v_add_f64 v[40:41], v[58:59], v[40:41]
	v_fma_f64 v[170:171], v[66:67], s[6:7], -v[62:63]
	v_fma_f64 v[62:63], v[66:67], s[6:7], v[62:63]
	s_mov_b32 s56, s36
	s_mov_b32 s42, s46
	;; [unrolled: 1-line block ×4, first 2 shown]
	v_add_f64 v[60:61], v[30:31], v[58:59]
	v_mul_f64 v[112:113], v[20:21], s[48:49]
	v_mul_f64 v[114:115], v[20:21], s[26:27]
	;; [unrolled: 1-line block ×14, first 2 shown]
	v_add_f64 v[40:41], v[50:51], v[40:41]
	v_mul_f64 v[136:137], v[24:25], s[50:51]
	v_mul_f64 v[24:25], v[24:25], s[42:43]
	;; [unrolled: 1-line block ×10, first 2 shown]
	v_fma_f64 v[182:183], v[54:55], s[14:15], -v[97:98]
	v_fma_f64 v[97:98], v[54:55], s[14:15], v[97:98]
	v_fma_f64 v[184:185], v[54:55], s[18:19], -v[99:100]
	v_fma_f64 v[99:100], v[54:55], s[18:19], v[99:100]
	;; [unrolled: 2-line block ×3, first 2 shown]
	v_fma_f64 v[188:189], v[54:55], s[20:21], -v[106:107]
	v_add_f64 v[168:169], v[2:3], v[168:169]
	v_add_f64 v[44:45], v[2:3], v[44:45]
	;; [unrolled: 1-line block ×5, first 2 shown]
	v_fma_f64 v[46:47], v[66:67], s[24:25], -v[4:5]
	v_fma_f64 v[4:5], v[66:67], s[24:25], v[4:5]
	v_fma_f64 v[66:67], v[54:55], s[6:7], -v[95:96]
	v_fma_f64 v[95:96], v[54:55], s[6:7], v[95:96]
	v_add_f64 v[172:173], v[2:3], v[172:173]
	v_add_f64 v[64:65], v[2:3], v[64:65]
	;; [unrolled: 1-line block ×5, first 2 shown]
	v_fma_f64 v[190:191], v[54:55], s[16:17], -v[108:109]
	v_fma_f64 v[108:109], v[54:55], s[16:17], v[108:109]
	v_fma_f64 v[192:193], v[54:55], s[8:9], -v[110:111]
	v_add_f64 v[91:92], v[2:3], v[91:92]
	v_add_f64 v[180:181], v[2:3], v[180:181]
	v_fma_f64 v[110:111], v[54:55], s[8:9], v[110:111]
	v_fma_f64 v[194:195], v[54:55], s[0:1], -v[16:17]
	v_add_f64 v[93:94], v[2:3], v[93:94]
	v_add_f64 v[56:57], v[34:35], v[50:51]
	v_fma_f64 v[16:17], v[54:55], s[0:1], v[16:17]
	v_add_f64 v[89:90], v[2:3], v[89:90]
	v_add_f64 v[178:179], v[2:3], v[178:179]
	;; [unrolled: 1-line block ×5, first 2 shown]
	v_fma_f64 v[106:107], v[54:55], s[20:21], v[106:107]
	v_fma_f64 v[54:55], v[52:53], s[8:9], -v[112:113]
	v_fma_f64 v[112:113], v[52:53], s[8:9], v[112:113]
	v_fma_f64 v[196:197], v[52:53], s[18:19], -v[114:115]
	;; [unrolled: 2-line block ×9, first 2 shown]
	v_fma_f64 v[124:125], v[42:43], s[14:15], v[124:125]
	v_add_f64 v[40:41], v[14:15], v[40:41]
	v_fma_f64 v[210:211], v[42:43], s[24:25], -v[126:127]
	v_fma_f64 v[126:127], v[42:43], s[24:25], v[126:127]
	v_fma_f64 v[212:213], v[42:43], s[16:17], -v[128:129]
	v_fma_f64 v[128:129], v[42:43], s[16:17], v[128:129]
	;; [unrolled: 2-line block ×10, first 2 shown]
	v_fma_f64 v[228:229], v[60:61], s[8:9], -v[144:145]
	v_add_f64 v[38:39], v[38:39], v[40:41]
	v_fma_f64 v[144:145], v[60:61], s[8:9], v[144:145]
	v_fma_f64 v[40:41], v[60:61], s[24:25], -v[146:147]
	v_fma_f64 v[146:147], v[60:61], s[24:25], v[146:147]
	v_fma_f64 v[230:231], v[60:61], s[14:15], -v[148:149]
	;; [unrolled: 2-line block ×3, first 2 shown]
	v_add_f64 v[4:5], v[66:67], v[168:169]
	v_add_f64 v[44:45], v[95:96], v[44:45]
	;; [unrolled: 1-line block ×5, first 2 shown]
	v_fma_f64 v[97:98], v[60:61], s[18:19], -v[28:29]
	v_add_f64 v[64:65], v[99:100], v[64:65]
	v_fma_f64 v[28:29], v[60:61], s[18:19], v[28:29]
	v_add_f64 v[87:88], v[101:102], v[87:88]
	v_add_f64 v[91:92], v[108:109], v[91:92]
	;; [unrolled: 1-line block ×8, first 2 shown]
	v_fma_f64 v[38:39], v[60:61], s[0:1], v[150:151]
	v_add_f64 v[60:61], v[186:187], v[174:175]
	v_add_f64 v[150:151], v[188:189], v[176:177]
	;; [unrolled: 1-line block ×3, first 2 shown]
	v_mul_f64 v[152:153], v[32:33], s[26:27]
	v_mul_f64 v[154:155], v[32:33], s[54:55]
	v_add_f64 v[4:5], v[54:55], v[4:5]
	v_add_f64 v[16:17], v[112:113], v[44:45]
	v_add_f64 v[44:45], v[196:197], v[66:67]
	v_add_f64 v[54:55], v[114:115], v[62:63]
	v_add_f64 v[62:63], v[198:199], v[95:96]
	v_mul_f64 v[156:157], v[32:33], s[28:29]
	v_add_f64 v[64:65], v[116:117], v[64:65]
	v_mul_f64 v[50:51], v[32:33], s[30:31]
	v_add_f64 v[87:88], v[118:119], v[87:88]
	;; [unrolled: 2-line block ×3, first 2 shown]
	v_add_f64 v[58:59], v[58:59], v[93:94]
	v_add_f64 v[46:47], v[208:209], v[46:47]
	;; [unrolled: 1-line block ×3, first 2 shown]
	v_mul_f64 v[160:161], v[32:33], s[46:47]
	v_add_f64 v[30:31], v[30:31], v[34:35]
	v_mul_f64 v[162:163], v[32:33], s[36:37]
	v_add_f64 v[60:61], v[200:201], v[60:61]
	v_add_f64 v[114:115], v[202:203], v[150:151]
	v_mul_f64 v[32:33], v[32:33], s[38:39]
	v_add_f64 v[91:92], v[122:123], v[91:92]
	v_add_f64 v[89:90], v[120:121], v[89:90]
	;; [unrolled: 1-line block ×9, first 2 shown]
	v_fma_f64 v[99:100], v[56:57], s[18:19], -v[152:153]
	v_add_f64 v[87:88], v[130:131], v[87:88]
	v_fma_f64 v[101:102], v[56:57], s[18:19], v[152:153]
	v_add_f64 v[108:109], v[220:221], v[108:109]
	v_add_f64 v[58:59], v[136:137], v[58:59]
	;; [unrolled: 1-line block ×4, first 2 shown]
	v_fma_f64 v[34:35], v[56:57], s[16:17], -v[154:155]
	v_add_f64 v[26:27], v[26:27], v[30:31]
	v_fma_f64 v[66:67], v[56:57], s[16:17], v[154:155]
	v_add_f64 v[60:61], v[214:215], v[60:61]
	v_add_f64 v[114:115], v[216:217], v[114:115]
	v_fma_f64 v[95:96], v[56:57], s[0:1], -v[156:157]
	v_fma_f64 v[110:111], v[56:57], s[0:1], v[156:157]
	v_fma_f64 v[112:113], v[56:57], s[20:21], -v[50:51]
	v_fma_f64 v[30:31], v[56:57], s[20:21], v[50:51]
	;; [unrolled: 2-line block ×4, first 2 shown]
	v_add_f64 v[91:92], v[134:135], v[91:92]
	v_add_f64 v[4:5], v[42:43], v[4:5]
	;; [unrolled: 1-line block ×4, first 2 shown]
	v_fma_f64 v[44:45], v[56:57], s[24:25], v[162:163]
	v_add_f64 v[52:53], v[142:143], v[54:55]
	v_fma_f64 v[54:55], v[56:57], s[8:9], -v[32:33]
	v_fma_f64 v[32:33], v[56:57], s[8:9], v[32:33]
	v_mul_f64 v[164:165], v[36:37], s[30:31]
	v_mul_f64 v[166:167], v[36:37], s[38:39]
	v_add_f64 v[22:23], v[22:23], v[26:27]
	v_fma_f64 v[26:27], v[56:57], s[24:25], -v[162:163]
	v_add_f64 v[60:61], v[228:229], v[60:61]
	v_add_f64 v[56:57], v[144:145], v[87:88]
	;; [unrolled: 1-line block ×12, first 2 shown]
	v_add_f64 v[8:9], v[8:9], -v[12:13]
	v_add_f64 v[28:29], v[95:96], v[42:43]
	v_add_f64 v[4:5], v[99:100], v[4:5]
	;; [unrolled: 1-line block ×3, first 2 shown]
	v_mul_f64 v[52:53], v[36:37], s[50:51]
	v_add_f64 v[24:25], v[66:67], v[24:25]
	v_fma_f64 v[87:88], v[48:49], s[20:21], -v[164:165]
	v_add_f64 v[10:11], v[14:15], v[10:11]
	v_add_f64 v[18:19], v[18:19], v[22:23]
	v_mul_f64 v[22:23], v[36:37], s[34:35]
	v_add_f64 v[58:59], v[112:113], v[60:61]
	v_mul_f64 v[60:61], v[36:37], s[28:29]
	;; [unrolled: 2-line block ×4, first 2 shown]
	v_mul_f64 v[36:37], v[36:37], s[22:23]
	v_add_f64 v[89:90], v[146:147], v[89:90]
	v_add_f64 v[16:17], v[101:102], v[16:17]
	;; [unrolled: 1-line block ×3, first 2 shown]
	v_fma_f64 v[34:35], v[48:49], s[20:21], v[164:165]
	v_add_f64 v[12:13], v[26:27], v[108:109]
	v_fma_f64 v[26:27], v[48:49], s[8:9], -v[166:167]
	v_add_f64 v[38:39], v[44:45], v[38:39]
	v_add_f64 v[44:45], v[54:55], v[46:47]
	v_fma_f64 v[46:47], v[48:49], s[8:9], v[166:167]
	v_add_f64 v[106:107], v[230:231], v[106:107]
	v_add_f64 v[2:3], v[32:33], v[2:3]
	;; [unrolled: 1-line block ×3, first 2 shown]
	v_mul_f64 v[14:15], v[8:9], s[36:37]
	v_add_f64 v[4:5], v[87:88], v[4:5]
	v_fma_f64 v[32:33], v[48:49], s[14:15], -v[22:23]
	v_fma_f64 v[22:23], v[48:49], s[14:15], v[22:23]
	v_fma_f64 v[54:55], v[48:49], s[0:1], -v[60:61]
	v_fma_f64 v[60:61], v[48:49], s[0:1], v[60:61]
	;; [unrolled: 2-line block ×3, first 2 shown]
	v_mul_f64 v[93:94], v[8:9], s[42:43]
	v_fma_f64 v[91:92], v[48:49], s[16:17], -v[36:37]
	v_fma_f64 v[36:37], v[48:49], s[16:17], v[36:37]
	v_add_f64 v[62:63], v[62:63], v[89:90]
	v_fma_f64 v[89:90], v[48:49], s[6:7], -v[50:51]
	v_add_f64 v[16:17], v[34:35], v[16:17]
	v_fma_f64 v[34:35], v[48:49], s[18:19], -v[52:53]
	v_fma_f64 v[52:53], v[48:49], s[18:19], v[52:53]
	v_fma_f64 v[50:51], v[48:49], s[6:7], v[50:51]
	v_mul_f64 v[48:49], v[8:9], s[40:41]
	v_add_f64 v[20:21], v[26:27], v[20:21]
	v_mul_f64 v[26:27], v[8:9], s[30:31]
	v_add_f64 v[24:25], v[46:47], v[24:25]
	v_mul_f64 v[46:47], v[8:9], s[26:27]
	v_add_f64 v[64:65], v[64:65], v[106:107]
	v_mul_f64 v[95:96], v[8:9], s[38:39]
	v_add_f64 v[28:29], v[32:33], v[28:29]
	v_mul_f64 v[32:33], v[8:9], s[22:23]
	v_mul_f64 v[8:9], v[8:9], s[44:45]
	v_add_f64 v[40:41], v[54:55], v[40:41]
	v_add_f64 v[22:23], v[22:23], v[42:43]
	;; [unrolled: 1-line block ×6, first 2 shown]
	v_fma_f64 v[36:37], v[10:11], s[24:25], -v[14:15]
	v_add_f64 v[42:43], v[60:61], v[62:63]
	v_fma_f64 v[60:61], v[10:11], s[6:7], v[93:94]
	v_add_f64 v[34:35], v[34:35], v[58:59]
	v_add_f64 v[30:31], v[52:53], v[30:31]
	;; [unrolled: 1-line block ×3, first 2 shown]
	v_fma_f64 v[50:51], v[10:11], s[0:1], -v[48:49]
	v_fma_f64 v[48:49], v[10:11], s[0:1], v[48:49]
	v_fma_f64 v[56:57], v[10:11], s[20:21], -v[26:27]
	v_fma_f64 v[58:59], v[10:11], s[6:7], -v[93:94]
	;; [unrolled: 1-line block ×3, first 2 shown]
	v_add_f64 v[52:53], v[87:88], v[64:65]
	v_add_f64 v[12:13], v[89:90], v[12:13]
	v_fma_f64 v[64:65], v[10:11], s[8:9], -v[95:96]
	v_fma_f64 v[87:88], v[10:11], s[16:17], -v[32:33]
	;; [unrolled: 1-line block ×3, first 2 shown]
	v_fma_f64 v[8:9], v[10:11], s[14:15], v[8:9]
	v_fma_f64 v[66:67], v[10:11], s[8:9], v[95:96]
	;; [unrolled: 1-line block ×6, first 2 shown]
	v_add_f64 v[4:5], v[36:37], v[4:5]
	v_add_f64 v[14:15], v[50:51], v[20:21]
	;; [unrolled: 1-line block ×16, first 2 shown]
	v_lshl_add_u32 v16, v104, 7, v84
	ds_write2_b64 v16, v[6:7], v[4:5] offset1:1
	ds_write2_b64 v16, v[14:15], v[20:21] offset0:2 offset1:3
	ds_write2_b64 v16, v[24:25], v[30:31] offset0:4 offset1:5
	;; [unrolled: 1-line block ×7, first 2 shown]
	ds_write_b64 v16, v[10:11] offset:128
.LBB0_17:
	s_or_b32 exec_lo, exec_lo, s33
	v_and_b32_e32 v2, 0xff, v104
	v_mov_b32_e32 v3, 6
	s_waitcnt lgkmcnt(0)
	s_barrier
	buffer_gl0_inv
	v_mul_lo_u16 v2, 0xf1, v2
	s_mov_b32 s8, 0x37e14327
	s_mov_b32 s16, 0xe976ee23
	s_mov_b32 s9, 0x3fe948f6
	s_mov_b32 s0, 0x36b3c0b5
	v_lshrrev_b16 v52, 12, v2
	s_mov_b32 s17, 0x3fe11646
	s_mov_b32 s6, 0x429ad128
	;; [unrolled: 1-line block ×4, first 2 shown]
	v_mul_lo_u16 v2, v52, 17
	s_mov_b32 s14, 0xaaaaaaaa
	s_mov_b32 s22, 0xb247c609
	;; [unrolled: 1-line block ×4, first 2 shown]
	v_sub_nc_u16 v53, v104, v2
	s_mov_b32 s23, 0xbfd5d0dc
	s_mov_b32 s19, 0x3fe77f67
	;; [unrolled: 1-line block ×4, first 2 shown]
	v_mul_u32_u24_sdwa v2, v53, v3 dst_sel:DWORD dst_unused:UNUSED_PAD src0_sel:BYTE_0 src1_sel:DWORD
	s_mov_b32 s20, s18
	s_mov_b32 s24, s22
	;; [unrolled: 1-line block ×4, first 2 shown]
	v_lshlrev_b32_e32 v22, 4, v2
	s_clause 0x5
	global_load_dwordx4 v[2:5], v22, s[12:13]
	global_load_dwordx4 v[6:9], v22, s[12:13] offset:16
	global_load_dwordx4 v[10:13], v22, s[12:13] offset:80
	;; [unrolled: 1-line block ×5, first 2 shown]
	ds_read2_b64 v[26:29], v84 offset1:119
	ds_read2_b64 v[30:33], v85 offset0:110 offset1:229
	ds_read_b64 v[38:39], v84 offset:5712
	ds_read2_b64 v[34:37], v86 offset0:92 offset1:211
	s_waitcnt vmcnt(0) lgkmcnt(0)
	s_barrier
	buffer_gl0_inv
	v_mul_f64 v[40:41], v[28:29], v[4:5]
	v_mul_f64 v[42:43], v[30:31], v[8:9]
	;; [unrolled: 1-line block ×12, first 2 shown]
	v_fma_f64 v[40:41], v[70:71], v[2:3], v[40:41]
	v_fma_f64 v[42:43], v[76:77], v[6:7], v[42:43]
	;; [unrolled: 1-line block ×4, first 2 shown]
	v_fma_f64 v[2:3], v[28:29], v[2:3], -v[4:5]
	v_fma_f64 v[4:5], v[30:31], v[6:7], -v[8:9]
	v_fma_f64 v[6:7], v[78:79], v[18:19], v[48:49]
	v_fma_f64 v[8:9], v[38:39], v[10:11], -v[12:13]
	v_fma_f64 v[10:11], v[36:37], v[14:15], -v[16:17]
	;; [unrolled: 1-line block ×3, first 2 shown]
	v_fma_f64 v[14:15], v[72:73], v[22:23], v[50:51]
	v_fma_f64 v[16:17], v[34:35], v[22:23], -v[24:25]
	v_add_f64 v[18:19], v[40:41], v[0:1]
	v_add_f64 v[20:21], v[42:43], v[44:45]
	v_add_f64 v[0:1], v[40:41], -v[0:1]
	v_add_f64 v[22:23], v[2:3], v[8:9]
	v_add_f64 v[24:25], v[4:5], v[10:11]
	v_add_f64 v[4:5], v[4:5], -v[10:11]
	v_add_f64 v[10:11], v[6:7], v[14:15]
	v_add_f64 v[28:29], v[16:17], -v[12:13]
	v_add_f64 v[2:3], v[2:3], -v[8:9]
	v_add_f64 v[12:13], v[12:13], v[16:17]
	v_add_f64 v[16:17], v[42:43], -v[44:45]
	v_add_f64 v[6:7], v[14:15], -v[6:7]
	v_add_f64 v[8:9], v[20:21], v[18:19]
	v_add_f64 v[14:15], v[24:25], v[22:23]
	v_add_f64 v[30:31], v[18:19], -v[10:11]
	v_add_f64 v[32:33], v[28:29], -v[4:5]
	;; [unrolled: 1-line block ×5, first 2 shown]
	v_add_f64 v[4:5], v[28:29], v[4:5]
	v_add_f64 v[40:41], v[6:7], -v[16:17]
	v_add_f64 v[28:29], v[2:3], -v[28:29]
	;; [unrolled: 1-line block ×5, first 2 shown]
	v_add_f64 v[16:17], v[6:7], v[16:17]
	v_add_f64 v[6:7], v[0:1], -v[6:7]
	v_add_f64 v[8:9], v[10:11], v[8:9]
	v_add_f64 v[10:11], v[10:11], -v[20:21]
	v_add_f64 v[12:13], v[12:13], v[14:15]
	v_mul_f64 v[14:15], v[30:31], s[8:9]
	v_mul_f64 v[30:31], v[32:33], s[16:17]
	v_mul_f64 v[32:33], v[34:35], s[6:7]
	v_mul_f64 v[24:25], v[36:37], s[8:9]
	v_mul_f64 v[36:37], v[38:39], s[0:1]
	v_add_f64 v[2:3], v[4:5], v[2:3]
	v_mul_f64 v[4:5], v[40:41], s[16:17]
	v_mul_f64 v[40:41], v[42:43], s[6:7]
	v_add_f64 v[0:1], v[16:17], v[0:1]
	v_add_f64 v[44:45], v[68:69], v[8:9]
	v_mul_f64 v[20:21], v[10:11], s[0:1]
	v_add_f64 v[26:27], v[26:27], v[12:13]
	v_fma_f64 v[10:11], v[10:11], s[0:1], v[14:15]
	v_fma_f64 v[46:47], v[28:29], s[22:23], v[30:31]
	v_fma_f64 v[30:31], v[34:35], s[6:7], -v[30:31]
	v_fma_f64 v[28:29], v[28:29], s[24:25], -v[32:33]
	;; [unrolled: 1-line block ×3, first 2 shown]
	v_fma_f64 v[16:17], v[38:39], s[0:1], v[24:25]
	v_fma_f64 v[8:9], v[8:9], s[14:15], v[44:45]
	v_fma_f64 v[18:19], v[18:19], s[18:19], -v[20:21]
	v_fma_f64 v[20:21], v[22:23], s[18:19], -v[36:37]
	;; [unrolled: 1-line block ×3, first 2 shown]
	v_fma_f64 v[24:25], v[6:7], s[22:23], v[4:5]
	v_fma_f64 v[4:5], v[42:43], s[6:7], -v[4:5]
	v_fma_f64 v[6:7], v[6:7], s[24:25], -v[40:41]
	v_fma_f64 v[12:13], v[12:13], s[14:15], v[26:27]
	v_fma_f64 v[32:33], v[2:3], s[26:27], v[46:47]
	v_fma_f64 v[30:31], v[2:3], s[26:27], v[30:31]
	v_fma_f64 v[2:3], v[2:3], s[26:27], v[28:29]
	v_mov_b32_e32 v28, 0x3b8
	v_mov_b32_e32 v29, 3
	v_add_f64 v[10:11], v[10:11], v[8:9]
	v_add_f64 v[14:15], v[14:15], v[8:9]
	;; [unrolled: 1-line block ×3, first 2 shown]
	v_fma_f64 v[18:19], v[0:1], s[26:27], v[24:25]
	v_fma_f64 v[4:5], v[0:1], s[26:27], v[4:5]
	;; [unrolled: 1-line block ×3, first 2 shown]
	v_add_f64 v[6:7], v[16:17], v[12:13]
	v_add_f64 v[16:17], v[22:23], v[12:13]
	;; [unrolled: 1-line block ×5, first 2 shown]
	v_add_f64 v[24:25], v[8:9], -v[30:31]
	v_add_f64 v[8:9], v[30:31], v[8:9]
	v_add_f64 v[2:3], v[14:15], -v[2:3]
	v_add_f64 v[10:11], v[10:11], -v[32:33]
	v_mul_u32_u24_sdwa v14, v52, v28 dst_sel:DWORD dst_unused:UNUSED_PAD src0_sel:WORD_0 src1_sel:DWORD
	v_lshlrev_b32_sdwa v15, v29, v53 dst_sel:DWORD dst_unused:UNUSED_PAD src0_sel:DWORD src1_sel:BYTE_0
	v_add_f64 v[28:29], v[16:17], -v[0:1]
	v_add_f64 v[30:31], v[4:5], v[12:13]
	v_add_f64 v[32:33], v[12:13], -v[4:5]
	v_add_f64 v[16:17], v[0:1], v[16:17]
	v_add3_u32 v34, 0, v14, v15
	v_add_f64 v[14:15], v[6:7], -v[18:19]
	v_add_f64 v[18:19], v[18:19], v[6:7]
	ds_write2_b64 v34, v[44:45], v[20:21] offset1:17
	ds_write2_b64 v34, v[22:23], v[24:25] offset0:34 offset1:51
	ds_write2_b64 v34, v[8:9], v[2:3] offset0:68 offset1:85
	ds_write_b64 v34, v[10:11] offset:816
	s_waitcnt lgkmcnt(0)
	s_barrier
	buffer_gl0_inv
	ds_read2_b64 v[0:3], v84 offset1:119
	ds_read2_b64 v[4:7], v85 offset0:110 offset1:229
	ds_read2_b64 v[8:11], v86 offset0:92 offset1:211
	ds_read_b64 v[12:13], v84 offset:5712
	s_waitcnt lgkmcnt(0)
	s_barrier
	buffer_gl0_inv
	ds_write2_b64 v34, v[26:27], v[14:15] offset1:17
	ds_write2_b64 v34, v[28:29], v[30:31] offset0:34 offset1:51
	ds_write2_b64 v34, v[32:33], v[16:17] offset0:68 offset1:85
	ds_write_b64 v34, v[18:19] offset:816
	s_waitcnt lgkmcnt(0)
	s_barrier
	buffer_gl0_inv
	s_and_saveexec_b32 s28, vcc_lo
	s_cbranch_execz .LBB0_19
; %bb.18:
	v_mul_u32_u24_e32 v14, 6, v104
	v_add_nc_u32_e32 v42, 0xc00, v84
	v_add_nc_u32_e32 v46, 0x400, v84
	;; [unrolled: 1-line block ×4, first 2 shown]
	v_lshlrev_b32_e32 v34, 4, v14
	v_add_nc_u32_e32 v72, 0x1dc, v105
	v_add_nc_u32_e32 v73, 0x253, v105
	s_clause 0x5
	global_load_dwordx4 v[14:17], v34, s[12:13] offset:1648
	global_load_dwordx4 v[18:21], v34, s[12:13] offset:1696
	;; [unrolled: 1-line block ×6, first 2 shown]
	ds_read2_b64 v[38:41], v84 offset1:119
	ds_read_b64 v[50:51], v84 offset:5712
	ds_read2_b64 v[42:45], v42 offset0:92 offset1:211
	ds_read2_b64 v[46:49], v46 offset0:110 offset1:229
	s_waitcnt vmcnt(5)
	v_mul_f64 v[52:53], v[4:5], v[14:15]
	s_waitcnt vmcnt(4)
	v_mul_f64 v[54:55], v[10:11], v[18:19]
	v_mul_f64 v[4:5], v[4:5], v[16:17]
	v_mul_f64 v[10:11], v[10:11], v[20:21]
	s_waitcnt vmcnt(3)
	v_mul_f64 v[56:57], v[2:3], v[24:25]
	s_waitcnt vmcnt(2)
	v_mul_f64 v[58:59], v[12:13], v[28:29]
	v_mul_f64 v[2:3], v[2:3], v[22:23]
	v_mul_f64 v[12:13], v[12:13], v[26:27]
	;; [unrolled: 6-line block ×3, first 2 shown]
	s_waitcnt lgkmcnt(0)
	v_fma_f64 v[16:17], v[46:47], v[16:17], v[52:53]
	v_fma_f64 v[20:21], v[44:45], v[20:21], v[54:55]
	v_fma_f64 v[4:5], v[46:47], v[14:15], -v[4:5]
	v_fma_f64 v[10:11], v[44:45], v[18:19], -v[10:11]
	;; [unrolled: 1-line block ×4, first 2 shown]
	v_fma_f64 v[2:3], v[40:41], v[24:25], v[2:3]
	v_fma_f64 v[12:13], v[50:51], v[28:29], v[12:13]
	;; [unrolled: 1-line block ×4, first 2 shown]
	v_fma_f64 v[6:7], v[48:49], v[34:35], -v[6:7]
	v_fma_f64 v[8:9], v[42:43], v[30:31], -v[8:9]
	v_mul_lo_u32 v54, s5, v82
	v_mul_lo_u32 v55, s4, v83
	v_mad_u64_u32 v[22:23], null, s4, v82, 0
	v_add_nc_u32_e32 v56, 0x77, v105
	v_add_nc_u32_e32 v58, 0xee, v105
	v_mad_u64_u32 v[24:25], null, s2, v105, 0
	v_lshlrev_b64 v[26:27], 4, v[80:81]
	v_mad_u64_u32 v[42:43], null, s2, v56, 0
	v_add_f64 v[36:37], v[16:17], v[20:21]
	v_add_f64 v[16:17], v[16:17], -v[20:21]
	v_add_f64 v[30:31], v[4:5], v[10:11]
	v_add3_u32 v23, v23, v55, v54
	v_add_f64 v[34:35], v[14:15], v[18:19]
	v_add_f64 v[14:15], v[14:15], -v[18:19]
	v_add_f64 v[40:41], v[2:3], v[12:13]
	v_add_f64 v[4:5], v[4:5], -v[10:11]
	v_add_f64 v[54:55], v[28:29], -v[32:33]
	v_add_f64 v[28:29], v[28:29], v[32:33]
	v_add_f64 v[20:21], v[8:9], v[6:7]
	v_add_f64 v[6:7], v[8:9], -v[6:7]
	v_add_f64 v[8:9], v[2:3], -v[12:13]
	v_mad_u64_u32 v[44:45], null, s2, v58, 0
	v_mad_u64_u32 v[46:47], null, s2, v70, 0
	;; [unrolled: 1-line block ×6, first 2 shown]
	v_mov_b32_e32 v13, v43
	v_add_f64 v[2:3], v[30:31], v[34:35]
	v_mov_b32_e32 v25, v45
	v_add_f64 v[10:11], v[36:37], v[40:41]
	v_mov_b32_e32 v32, v47
	v_mov_b32_e32 v33, v53
	;; [unrolled: 1-line block ×3, first 2 shown]
	v_add_f64 v[60:61], v[20:21], -v[30:31]
	v_add_f64 v[62:63], v[34:35], -v[20:21]
	v_mov_b32_e32 v19, v51
	v_mad_u64_u32 v[56:57], null, s3, v56, v[13:14]
	v_mad_u64_u32 v[57:58], null, s3, v58, v[25:26]
	;; [unrolled: 1-line block ×3, first 2 shown]
	v_add_f64 v[58:59], v[54:55], -v[16:17]
	v_add_f64 v[64:65], v[40:41], -v[28:29]
	v_add_f64 v[66:67], v[6:7], -v[4:5]
	v_add_f64 v[68:69], v[16:17], -v[8:9]
	v_mad_u64_u32 v[71:72], null, s3, v72, v[18:19]
	v_lshlrev_b64 v[22:23], 4, v[22:23]
	v_add_f64 v[20:21], v[20:21], v[2:3]
	v_mad_u64_u32 v[32:33], null, s3, v74, v[33:34]
	v_add_f64 v[10:11], v[28:29], v[10:11]
	v_add_f64 v[28:29], v[28:29], -v[36:37]
	v_add_f64 v[16:17], v[54:55], v[16:17]
	v_add_f64 v[53:54], v[8:9], -v[54:55]
	v_add_f64 v[30:31], v[30:31], -v[34:35]
	v_mul_f64 v[62:63], v[62:63], s[8:9]
	v_mov_b32_e32 v25, v12
	v_mov_b32_e32 v43, v56
	v_mov_b32_e32 v45, v57
	v_mov_b32_e32 v47, v70
	v_mov_b32_e32 v49, v71
	v_lshlrev_b64 v[24:25], 4, v[24:25]
	v_mul_f64 v[33:34], v[58:59], s[16:17]
	v_mul_f64 v[64:65], v[64:65], s[8:9]
	v_mul_f64 v[66:67], v[66:67], s[16:17]
	v_mul_f64 v[74:75], v[68:69], s[6:7]
	v_mul_f64 v[58:59], v[60:61], s[0:1]
	v_mad_u64_u32 v[18:19], null, s3, v73, v[19:20]
	v_add_f64 v[72:73], v[4:5], -v[14:15]
	v_add_co_u32 v19, vcc_lo, s10, v22
	v_add_f64 v[4:5], v[6:7], v[4:5]
	v_add_f64 v[6:7], v[14:15], -v[6:7]
	v_add_f64 v[2:3], v[38:39], v[20:21]
	v_add_f64 v[0:1], v[0:1], v[10:11]
	v_add_co_ci_u32_e32 v38, vcc_lo, s11, v23, vcc_lo
	v_add_f64 v[22:23], v[36:37], -v[40:41]
	v_mul_f64 v[35:36], v[28:29], s[0:1]
	v_add_co_u32 v76, vcc_lo, v19, v26
	v_add_co_ci_u32_e32 v77, vcc_lo, v38, v27, vcc_lo
	v_add_f64 v[8:9], v[16:17], v[8:9]
	v_fma_f64 v[16:17], v[60:61], s[0:1], v[62:63]
	v_fma_f64 v[26:27], v[28:29], s[0:1], v[64:65]
	v_fma_f64 v[37:38], v[53:54], s[24:25], -v[74:75]
	v_fma_f64 v[39:40], v[30:31], s[20:21], -v[62:63]
	;; [unrolled: 1-line block ×3, first 2 shown]
	v_mov_b32_e32 v51, v18
	v_mul_f64 v[12:13], v[72:73], s[6:7]
	v_add_f64 v[4:5], v[4:5], v[14:15]
	v_fma_f64 v[14:15], v[53:54], s[22:23], v[33:34]
	v_fma_f64 v[28:29], v[6:7], s[22:23], v[66:67]
	v_fma_f64 v[33:34], v[68:69], s[6:7], -v[33:34]
	v_fma_f64 v[19:20], v[20:21], s[14:15], v[2:3]
	v_fma_f64 v[10:11], v[10:11], s[14:15], v[0:1]
	v_fma_f64 v[54:55], v[22:23], s[20:21], -v[64:65]
	v_fma_f64 v[21:22], v[22:23], s[18:19], -v[35:36]
	v_mov_b32_e32 v53, v32
	v_lshlrev_b64 v[35:36], 4, v[42:43]
	v_lshlrev_b64 v[41:42], 4, v[44:45]
	;; [unrolled: 1-line block ×4, first 2 shown]
	v_fma_f64 v[37:38], v[8:9], s[26:27], v[37:38]
	v_fma_f64 v[6:7], v[6:7], s[24:25], -v[12:13]
	v_fma_f64 v[12:13], v[72:73], s[6:7], -v[66:67]
	v_fma_f64 v[47:48], v[8:9], s[26:27], v[14:15]
	v_fma_f64 v[28:29], v[4:5], s[26:27], v[28:29]
	;; [unrolled: 1-line block ×3, first 2 shown]
	v_add_f64 v[16:17], v[16:17], v[19:20]
	v_add_f64 v[32:33], v[26:27], v[10:11]
	;; [unrolled: 1-line block ×4, first 2 shown]
	v_lshlrev_b64 v[30:31], 4, v[50:51]
	v_lshlrev_b64 v[39:40], 4, v[52:53]
	v_add_f64 v[51:52], v[54:55], v[10:11]
	v_add_f64 v[53:54], v[21:22], v[10:11]
	v_add_co_u32 v55, vcc_lo, v76, v24
	v_add_co_ci_u32_e32 v56, vcc_lo, v77, v25, vcc_lo
	v_add_co_u32 v34, vcc_lo, v76, v35
	v_add_co_ci_u32_e32 v35, vcc_lo, v77, v36, vcc_lo
	v_fma_f64 v[49:50], v[4:5], s[26:27], v[6:7]
	v_fma_f64 v[12:13], v[4:5], s[26:27], v[12:13]
	v_add_co_u32 v41, vcc_lo, v76, v41
	v_add_co_ci_u32_e32 v42, vcc_lo, v77, v42, vcc_lo
	v_add_f64 v[6:7], v[47:48], v[16:17]
	v_add_f64 v[24:25], v[28:29], v[32:33]
	;; [unrolled: 1-line block ×3, first 2 shown]
	v_add_f64 v[22:23], v[26:27], -v[37:38]
	v_add_f64 v[26:27], v[16:17], -v[47:48]
	;; [unrolled: 1-line block ×3, first 2 shown]
	v_add_f64 v[18:19], v[8:9], v[18:19]
	v_add_f64 v[4:5], v[32:33], -v[28:29]
	v_add_co_u32 v28, vcc_lo, v76, v43
	v_add_co_ci_u32_e32 v29, vcc_lo, v77, v44, vcc_lo
	v_add_co_u32 v32, vcc_lo, v76, v45
	v_add_co_ci_u32_e32 v33, vcc_lo, v77, v46, vcc_lo
	v_add_f64 v[20:21], v[49:50], v[51:52]
	v_add_f64 v[16:17], v[53:54], -v[12:13]
	v_add_f64 v[12:13], v[12:13], v[53:54]
	v_add_f64 v[8:9], v[51:52], -v[49:50]
	v_add_co_u32 v30, vcc_lo, v76, v30
	v_add_co_ci_u32_e32 v31, vcc_lo, v77, v31, vcc_lo
	v_add_co_u32 v36, vcc_lo, v76, v39
	v_add_co_ci_u32_e32 v37, vcc_lo, v77, v40, vcc_lo
	global_store_dwordx4 v[55:56], v[0:3], off
	global_store_dwordx4 v[34:35], v[24:27], off
	;; [unrolled: 1-line block ×7, first 2 shown]
.LBB0_19:
	s_endpgm
	.section	.rodata,"a",@progbits
	.p2align	6, 0x0
	.amdhsa_kernel fft_rtc_back_len833_factors_17_7_7_wgs_119_tpt_119_halfLds_dp_op_CI_CI_sbrr_dirReg
		.amdhsa_group_segment_fixed_size 0
		.amdhsa_private_segment_fixed_size 0
		.amdhsa_kernarg_size 104
		.amdhsa_user_sgpr_count 6
		.amdhsa_user_sgpr_private_segment_buffer 1
		.amdhsa_user_sgpr_dispatch_ptr 0
		.amdhsa_user_sgpr_queue_ptr 0
		.amdhsa_user_sgpr_kernarg_segment_ptr 1
		.amdhsa_user_sgpr_dispatch_id 0
		.amdhsa_user_sgpr_flat_scratch_init 0
		.amdhsa_user_sgpr_private_segment_size 0
		.amdhsa_wavefront_size32 1
		.amdhsa_uses_dynamic_stack 0
		.amdhsa_system_sgpr_private_segment_wavefront_offset 0
		.amdhsa_system_sgpr_workgroup_id_x 1
		.amdhsa_system_sgpr_workgroup_id_y 0
		.amdhsa_system_sgpr_workgroup_id_z 0
		.amdhsa_system_sgpr_workgroup_info 0
		.amdhsa_system_vgpr_workitem_id 0
		.amdhsa_next_free_vgpr 234
		.amdhsa_next_free_sgpr 60
		.amdhsa_reserve_vcc 1
		.amdhsa_reserve_flat_scratch 0
		.amdhsa_float_round_mode_32 0
		.amdhsa_float_round_mode_16_64 0
		.amdhsa_float_denorm_mode_32 3
		.amdhsa_float_denorm_mode_16_64 3
		.amdhsa_dx10_clamp 1
		.amdhsa_ieee_mode 1
		.amdhsa_fp16_overflow 0
		.amdhsa_workgroup_processor_mode 1
		.amdhsa_memory_ordered 1
		.amdhsa_forward_progress 0
		.amdhsa_shared_vgpr_count 0
		.amdhsa_exception_fp_ieee_invalid_op 0
		.amdhsa_exception_fp_denorm_src 0
		.amdhsa_exception_fp_ieee_div_zero 0
		.amdhsa_exception_fp_ieee_overflow 0
		.amdhsa_exception_fp_ieee_underflow 0
		.amdhsa_exception_fp_ieee_inexact 0
		.amdhsa_exception_int_div_zero 0
	.end_amdhsa_kernel
	.text
.Lfunc_end0:
	.size	fft_rtc_back_len833_factors_17_7_7_wgs_119_tpt_119_halfLds_dp_op_CI_CI_sbrr_dirReg, .Lfunc_end0-fft_rtc_back_len833_factors_17_7_7_wgs_119_tpt_119_halfLds_dp_op_CI_CI_sbrr_dirReg
                                        ; -- End function
	.section	.AMDGPU.csdata,"",@progbits
; Kernel info:
; codeLenInByte = 11832
; NumSgprs: 62
; NumVgprs: 234
; ScratchSize: 0
; MemoryBound: 1
; FloatMode: 240
; IeeeMode: 1
; LDSByteSize: 0 bytes/workgroup (compile time only)
; SGPRBlocks: 7
; VGPRBlocks: 29
; NumSGPRsForWavesPerEU: 62
; NumVGPRsForWavesPerEU: 234
; Occupancy: 4
; WaveLimiterHint : 1
; COMPUTE_PGM_RSRC2:SCRATCH_EN: 0
; COMPUTE_PGM_RSRC2:USER_SGPR: 6
; COMPUTE_PGM_RSRC2:TRAP_HANDLER: 0
; COMPUTE_PGM_RSRC2:TGID_X_EN: 1
; COMPUTE_PGM_RSRC2:TGID_Y_EN: 0
; COMPUTE_PGM_RSRC2:TGID_Z_EN: 0
; COMPUTE_PGM_RSRC2:TIDIG_COMP_CNT: 0
	.text
	.p2alignl 6, 3214868480
	.fill 48, 4, 3214868480
	.type	__hip_cuid_35c455bd5eb6b9ec,@object ; @__hip_cuid_35c455bd5eb6b9ec
	.section	.bss,"aw",@nobits
	.globl	__hip_cuid_35c455bd5eb6b9ec
__hip_cuid_35c455bd5eb6b9ec:
	.byte	0                               ; 0x0
	.size	__hip_cuid_35c455bd5eb6b9ec, 1

	.ident	"AMD clang version 19.0.0git (https://github.com/RadeonOpenCompute/llvm-project roc-6.4.0 25133 c7fe45cf4b819c5991fe208aaa96edf142730f1d)"
	.section	".note.GNU-stack","",@progbits
	.addrsig
	.addrsig_sym __hip_cuid_35c455bd5eb6b9ec
	.amdgpu_metadata
---
amdhsa.kernels:
  - .args:
      - .actual_access:  read_only
        .address_space:  global
        .offset:         0
        .size:           8
        .value_kind:     global_buffer
      - .offset:         8
        .size:           8
        .value_kind:     by_value
      - .actual_access:  read_only
        .address_space:  global
        .offset:         16
        .size:           8
        .value_kind:     global_buffer
      - .actual_access:  read_only
        .address_space:  global
        .offset:         24
        .size:           8
        .value_kind:     global_buffer
      - .actual_access:  read_only
        .address_space:  global
        .offset:         32
        .size:           8
        .value_kind:     global_buffer
      - .offset:         40
        .size:           8
        .value_kind:     by_value
      - .actual_access:  read_only
        .address_space:  global
        .offset:         48
        .size:           8
        .value_kind:     global_buffer
      - .actual_access:  read_only
        .address_space:  global
        .offset:         56
        .size:           8
        .value_kind:     global_buffer
      - .offset:         64
        .size:           4
        .value_kind:     by_value
      - .actual_access:  read_only
        .address_space:  global
        .offset:         72
        .size:           8
        .value_kind:     global_buffer
      - .actual_access:  read_only
        .address_space:  global
        .offset:         80
        .size:           8
        .value_kind:     global_buffer
      - .actual_access:  read_only
        .address_space:  global
        .offset:         88
        .size:           8
        .value_kind:     global_buffer
      - .actual_access:  write_only
        .address_space:  global
        .offset:         96
        .size:           8
        .value_kind:     global_buffer
    .group_segment_fixed_size: 0
    .kernarg_segment_align: 8
    .kernarg_segment_size: 104
    .language:       OpenCL C
    .language_version:
      - 2
      - 0
    .max_flat_workgroup_size: 119
    .name:           fft_rtc_back_len833_factors_17_7_7_wgs_119_tpt_119_halfLds_dp_op_CI_CI_sbrr_dirReg
    .private_segment_fixed_size: 0
    .sgpr_count:     62
    .sgpr_spill_count: 0
    .symbol:         fft_rtc_back_len833_factors_17_7_7_wgs_119_tpt_119_halfLds_dp_op_CI_CI_sbrr_dirReg.kd
    .uniform_work_group_size: 1
    .uses_dynamic_stack: false
    .vgpr_count:     234
    .vgpr_spill_count: 0
    .wavefront_size: 32
    .workgroup_processor_mode: 1
amdhsa.target:   amdgcn-amd-amdhsa--gfx1030
amdhsa.version:
  - 1
  - 2
...

	.end_amdgpu_metadata
